;; amdgpu-corpus repo=zjin-lcf/HeCBench kind=compiled arch=gfx90a opt=O3
	.text
	.amdgcn_target "amdgcn-amd-amdhsa--gfx90a"
	.amdhsa_code_object_version 6
	.section	.text._Z19moe_sum_kernel_vec4ILi2EEvPfPKfi,"axG",@progbits,_Z19moe_sum_kernel_vec4ILi2EEvPfPKfi,comdat
	.protected	_Z19moe_sum_kernel_vec4ILi2EEvPfPKfi ; -- Begin function _Z19moe_sum_kernel_vec4ILi2EEvPfPKfi
	.globl	_Z19moe_sum_kernel_vec4ILi2EEvPfPKfi
	.p2align	8
	.type	_Z19moe_sum_kernel_vec4ILi2EEvPfPKfi,@function
_Z19moe_sum_kernel_vec4ILi2EEvPfPKfi:   ; @_Z19moe_sum_kernel_vec4ILi2EEvPfPKfi
; %bb.0:
	s_load_dword s8, s[4:5], 0x10
	s_waitcnt lgkmcnt(0)
	s_ashr_i32 s7, s8, 2
	v_cmp_gt_i32_e32 vcc, s7, v0
	s_and_saveexec_b64 s[0:1], vcc
	s_cbranch_execz .LBB0_3
; %bb.1:
	s_ashr_i32 s0, s8, 31
	s_mul_hi_u32 s1, s8, s6
	s_mul_i32 s0, s0, s6
	s_add_i32 s9, s1, s0
	s_load_dwordx4 s[0:3], s[4:5], 0x0
	s_load_dword s10, s[4:5], 0x24
	s_mul_i32 s4, s8, s6
	v_mov_b32_e32 v1, s4
	v_alignbit_b32 v2, s9, v1, 2
	v_add_u32_e32 v2, v0, v2
	v_ashrrev_i32_e32 v3, 31, v2
	v_lshlrev_b64 v[2:3], 4, v[2:3]
	v_alignbit_b32 v1, s9, v1, 1
	s_waitcnt lgkmcnt(0)
	s_and_b32 s4, s10, 0xffff
	v_mov_b32_e32 v4, s1
	v_add_co_u32_e32 v2, vcc, s0, v2
	s_mov_b32 s6, 0
	v_addc_co_u32_e32 v3, vcc, v4, v3, vcc
	s_lshl_b32 s5, s4, 4
	v_add_u32_e32 v4, s7, v1
	s_mov_b64 s[0:1], 0
	v_mov_b32_e32 v5, s3
	v_mov_b32_e32 v6, s6
.LBB0_2:                                ; =>This Inner Loop Header: Depth=1
	v_add_u32_e32 v8, v1, v0
	v_ashrrev_i32_e32 v9, 31, v8
	v_add_u32_e32 v10, v4, v0
	v_lshlrev_b64 v[8:9], 4, v[8:9]
	v_ashrrev_i32_e32 v11, 31, v10
	v_add_co_u32_e32 v16, vcc, s2, v8
	v_lshlrev_b64 v[10:11], 4, v[10:11]
	v_addc_co_u32_e32 v17, vcc, v5, v9, vcc
	v_add_co_u32_e32 v18, vcc, s2, v10
	v_addc_co_u32_e32 v19, vcc, v5, v11, vcc
	global_load_dwordx4 v[8:11], v[16:17], off
	global_load_dwordx4 v[12:15], v[18:19], off
	v_add_u32_e32 v0, s4, v0
	v_cmp_le_i32_e32 vcc, s7, v0
	s_or_b64 s[0:1], vcc, s[0:1]
	s_waitcnt vmcnt(1)
	v_pk_add_f32 v[10:11], v[10:11], 0 op_sel_hi:[1,0]
	v_pk_add_f32 v[8:9], v[8:9], 0 op_sel_hi:[1,0]
	s_waitcnt vmcnt(0)
	v_pk_add_f32 v[10:11], v[10:11], v[14:15]
	v_pk_add_f32 v[8:9], v[8:9], v[12:13]
	global_store_dwordx4 v[2:3], v[8:11], off
	v_add_co_u32_e32 v2, vcc, s5, v2
	v_addc_co_u32_e32 v3, vcc, v3, v6, vcc
	s_andn2_b64 exec, exec, s[0:1]
	s_cbranch_execnz .LBB0_2
.LBB0_3:
	s_endpgm
	.section	.rodata,"a",@progbits
	.p2align	6, 0x0
	.amdhsa_kernel _Z19moe_sum_kernel_vec4ILi2EEvPfPKfi
		.amdhsa_group_segment_fixed_size 0
		.amdhsa_private_segment_fixed_size 0
		.amdhsa_kernarg_size 280
		.amdhsa_user_sgpr_count 6
		.amdhsa_user_sgpr_private_segment_buffer 1
		.amdhsa_user_sgpr_dispatch_ptr 0
		.amdhsa_user_sgpr_queue_ptr 0
		.amdhsa_user_sgpr_kernarg_segment_ptr 1
		.amdhsa_user_sgpr_dispatch_id 0
		.amdhsa_user_sgpr_flat_scratch_init 0
		.amdhsa_user_sgpr_kernarg_preload_length 0
		.amdhsa_user_sgpr_kernarg_preload_offset 0
		.amdhsa_user_sgpr_private_segment_size 0
		.amdhsa_uses_dynamic_stack 0
		.amdhsa_system_sgpr_private_segment_wavefront_offset 0
		.amdhsa_system_sgpr_workgroup_id_x 1
		.amdhsa_system_sgpr_workgroup_id_y 0
		.amdhsa_system_sgpr_workgroup_id_z 0
		.amdhsa_system_sgpr_workgroup_info 0
		.amdhsa_system_vgpr_workitem_id 0
		.amdhsa_next_free_vgpr 20
		.amdhsa_next_free_sgpr 11
		.amdhsa_accum_offset 20
		.amdhsa_reserve_vcc 1
		.amdhsa_reserve_flat_scratch 0
		.amdhsa_float_round_mode_32 0
		.amdhsa_float_round_mode_16_64 0
		.amdhsa_float_denorm_mode_32 3
		.amdhsa_float_denorm_mode_16_64 3
		.amdhsa_dx10_clamp 1
		.amdhsa_ieee_mode 1
		.amdhsa_fp16_overflow 0
		.amdhsa_tg_split 0
		.amdhsa_exception_fp_ieee_invalid_op 0
		.amdhsa_exception_fp_denorm_src 0
		.amdhsa_exception_fp_ieee_div_zero 0
		.amdhsa_exception_fp_ieee_overflow 0
		.amdhsa_exception_fp_ieee_underflow 0
		.amdhsa_exception_fp_ieee_inexact 0
		.amdhsa_exception_int_div_zero 0
	.end_amdhsa_kernel
	.section	.text._Z19moe_sum_kernel_vec4ILi2EEvPfPKfi,"axG",@progbits,_Z19moe_sum_kernel_vec4ILi2EEvPfPKfi,comdat
.Lfunc_end0:
	.size	_Z19moe_sum_kernel_vec4ILi2EEvPfPKfi, .Lfunc_end0-_Z19moe_sum_kernel_vec4ILi2EEvPfPKfi
                                        ; -- End function
	.section	.AMDGPU.csdata,"",@progbits
; Kernel info:
; codeLenInByte = 292
; NumSgprs: 15
; NumVgprs: 20
; NumAgprs: 0
; TotalNumVgprs: 20
; ScratchSize: 0
; MemoryBound: 0
; FloatMode: 240
; IeeeMode: 1
; LDSByteSize: 0 bytes/workgroup (compile time only)
; SGPRBlocks: 1
; VGPRBlocks: 2
; NumSGPRsForWavesPerEU: 15
; NumVGPRsForWavesPerEU: 20
; AccumOffset: 20
; Occupancy: 8
; WaveLimiterHint : 0
; COMPUTE_PGM_RSRC2:SCRATCH_EN: 0
; COMPUTE_PGM_RSRC2:USER_SGPR: 6
; COMPUTE_PGM_RSRC2:TRAP_HANDLER: 0
; COMPUTE_PGM_RSRC2:TGID_X_EN: 1
; COMPUTE_PGM_RSRC2:TGID_Y_EN: 0
; COMPUTE_PGM_RSRC2:TGID_Z_EN: 0
; COMPUTE_PGM_RSRC2:TIDIG_COMP_CNT: 0
; COMPUTE_PGM_RSRC3_GFX90A:ACCUM_OFFSET: 4
; COMPUTE_PGM_RSRC3_GFX90A:TG_SPLIT: 0
	.section	.text._Z19moe_sum_kernel_vec4ILi3EEvPfPKfi,"axG",@progbits,_Z19moe_sum_kernel_vec4ILi3EEvPfPKfi,comdat
	.protected	_Z19moe_sum_kernel_vec4ILi3EEvPfPKfi ; -- Begin function _Z19moe_sum_kernel_vec4ILi3EEvPfPKfi
	.globl	_Z19moe_sum_kernel_vec4ILi3EEvPfPKfi
	.p2align	8
	.type	_Z19moe_sum_kernel_vec4ILi3EEvPfPKfi,@function
_Z19moe_sum_kernel_vec4ILi3EEvPfPKfi:   ; @_Z19moe_sum_kernel_vec4ILi3EEvPfPKfi
; %bb.0:
	s_load_dword s0, s[4:5], 0x10
	s_waitcnt lgkmcnt(0)
	s_ashr_i32 s7, s0, 2
	v_cmp_gt_i32_e32 vcc, s7, v0
	s_and_saveexec_b64 s[2:3], vcc
	s_cbranch_execz .LBB1_3
; %bb.1:
	s_ashr_i32 s1, s0, 31
	s_mul_hi_u32 s2, s0, s6
	s_mul_i32 s1, s1, s6
	s_mul_i32 s6, s0, s6
	s_add_i32 s1, s2, s1
	v_mov_b32_e32 v1, s6
	v_alignbit_b32 v2, s1, v1, 2
	s_mul_i32 s8, s1, 3
	s_load_dwordx4 s[0:3], s[4:5], 0x0
	s_load_dword s10, s[4:5], 0x24
	v_add_u32_e32 v2, v0, v2
	s_mul_hi_u32 s9, s6, 3
	s_mul_i32 s4, s6, 3
	v_ashrrev_i32_e32 v3, 31, v2
	s_add_i32 s9, s9, s8
	v_mov_b32_e32 v1, s4
	v_lshlrev_b64 v[2:3], 4, v[2:3]
	v_alignbit_b32 v1, s9, v1, 2
	s_waitcnt lgkmcnt(0)
	s_and_b32 s4, s10, 0xffff
	v_mov_b32_e32 v4, s1
	v_add_co_u32_e32 v2, vcc, s0, v2
	s_mov_b32 s6, 0
	s_lshl_b32 s0, s7, 1
	v_addc_co_u32_e32 v3, vcc, v4, v3, vcc
	s_lshl_b32 s5, s4, 4
	v_add_u32_e32 v4, s0, v1
	v_add_u32_e32 v5, s7, v1
	s_mov_b64 s[0:1], 0
	v_mov_b32_e32 v6, s3
	v_mov_b32_e32 v7, s6
.LBB1_2:                                ; =>This Inner Loop Header: Depth=1
	v_add_u32_e32 v8, v1, v0
	v_ashrrev_i32_e32 v9, 31, v8
	v_add_u32_e32 v10, v5, v0
	v_lshlrev_b64 v[8:9], 4, v[8:9]
	v_ashrrev_i32_e32 v11, 31, v10
	v_add_co_u32_e32 v20, vcc, s2, v8
	v_add_u32_e32 v12, v4, v0
	v_lshlrev_b64 v[10:11], 4, v[10:11]
	v_addc_co_u32_e32 v21, vcc, v6, v9, vcc
	v_ashrrev_i32_e32 v13, 31, v12
	v_add_co_u32_e32 v22, vcc, s2, v10
	v_lshlrev_b64 v[12:13], 4, v[12:13]
	v_addc_co_u32_e32 v23, vcc, v6, v11, vcc
	v_add_co_u32_e32 v24, vcc, s2, v12
	v_addc_co_u32_e32 v25, vcc, v6, v13, vcc
	global_load_dwordx4 v[8:11], v[20:21], off
	global_load_dwordx4 v[12:15], v[22:23], off
	;; [unrolled: 1-line block ×3, first 2 shown]
	v_add_u32_e32 v0, s4, v0
	v_cmp_le_i32_e32 vcc, s7, v0
	s_or_b64 s[0:1], vcc, s[0:1]
	s_waitcnt vmcnt(2)
	v_pk_add_f32 v[10:11], v[10:11], 0 op_sel_hi:[1,0]
	v_pk_add_f32 v[8:9], v[8:9], 0 op_sel_hi:[1,0]
	s_waitcnt vmcnt(1)
	v_pk_add_f32 v[10:11], v[10:11], v[14:15]
	v_pk_add_f32 v[8:9], v[8:9], v[12:13]
	s_waitcnt vmcnt(0)
	v_pk_add_f32 v[10:11], v[10:11], v[18:19]
	v_pk_add_f32 v[8:9], v[8:9], v[16:17]
	global_store_dwordx4 v[2:3], v[8:11], off
	v_add_co_u32_e32 v2, vcc, s5, v2
	v_addc_co_u32_e32 v3, vcc, v3, v7, vcc
	s_andn2_b64 exec, exec, s[0:1]
	s_cbranch_execnz .LBB1_2
.LBB1_3:
	s_endpgm
	.section	.rodata,"a",@progbits
	.p2align	6, 0x0
	.amdhsa_kernel _Z19moe_sum_kernel_vec4ILi3EEvPfPKfi
		.amdhsa_group_segment_fixed_size 0
		.amdhsa_private_segment_fixed_size 0
		.amdhsa_kernarg_size 280
		.amdhsa_user_sgpr_count 6
		.amdhsa_user_sgpr_private_segment_buffer 1
		.amdhsa_user_sgpr_dispatch_ptr 0
		.amdhsa_user_sgpr_queue_ptr 0
		.amdhsa_user_sgpr_kernarg_segment_ptr 1
		.amdhsa_user_sgpr_dispatch_id 0
		.amdhsa_user_sgpr_flat_scratch_init 0
		.amdhsa_user_sgpr_kernarg_preload_length 0
		.amdhsa_user_sgpr_kernarg_preload_offset 0
		.amdhsa_user_sgpr_private_segment_size 0
		.amdhsa_uses_dynamic_stack 0
		.amdhsa_system_sgpr_private_segment_wavefront_offset 0
		.amdhsa_system_sgpr_workgroup_id_x 1
		.amdhsa_system_sgpr_workgroup_id_y 0
		.amdhsa_system_sgpr_workgroup_id_z 0
		.amdhsa_system_sgpr_workgroup_info 0
		.amdhsa_system_vgpr_workitem_id 0
		.amdhsa_next_free_vgpr 26
		.amdhsa_next_free_sgpr 11
		.amdhsa_accum_offset 28
		.amdhsa_reserve_vcc 1
		.amdhsa_reserve_flat_scratch 0
		.amdhsa_float_round_mode_32 0
		.amdhsa_float_round_mode_16_64 0
		.amdhsa_float_denorm_mode_32 3
		.amdhsa_float_denorm_mode_16_64 3
		.amdhsa_dx10_clamp 1
		.amdhsa_ieee_mode 1
		.amdhsa_fp16_overflow 0
		.amdhsa_tg_split 0
		.amdhsa_exception_fp_ieee_invalid_op 0
		.amdhsa_exception_fp_denorm_src 0
		.amdhsa_exception_fp_ieee_div_zero 0
		.amdhsa_exception_fp_ieee_overflow 0
		.amdhsa_exception_fp_ieee_underflow 0
		.amdhsa_exception_fp_ieee_inexact 0
		.amdhsa_exception_int_div_zero 0
	.end_amdhsa_kernel
	.section	.text._Z19moe_sum_kernel_vec4ILi3EEvPfPKfi,"axG",@progbits,_Z19moe_sum_kernel_vec4ILi3EEvPfPKfi,comdat
.Lfunc_end1:
	.size	_Z19moe_sum_kernel_vec4ILi3EEvPfPKfi, .Lfunc_end1-_Z19moe_sum_kernel_vec4ILi3EEvPfPKfi
                                        ; -- End function
	.section	.AMDGPU.csdata,"",@progbits
; Kernel info:
; codeLenInByte = 372
; NumSgprs: 15
; NumVgprs: 26
; NumAgprs: 0
; TotalNumVgprs: 26
; ScratchSize: 0
; MemoryBound: 0
; FloatMode: 240
; IeeeMode: 1
; LDSByteSize: 0 bytes/workgroup (compile time only)
; SGPRBlocks: 1
; VGPRBlocks: 3
; NumSGPRsForWavesPerEU: 15
; NumVGPRsForWavesPerEU: 26
; AccumOffset: 28
; Occupancy: 8
; WaveLimiterHint : 0
; COMPUTE_PGM_RSRC2:SCRATCH_EN: 0
; COMPUTE_PGM_RSRC2:USER_SGPR: 6
; COMPUTE_PGM_RSRC2:TRAP_HANDLER: 0
; COMPUTE_PGM_RSRC2:TGID_X_EN: 1
; COMPUTE_PGM_RSRC2:TGID_Y_EN: 0
; COMPUTE_PGM_RSRC2:TGID_Z_EN: 0
; COMPUTE_PGM_RSRC2:TIDIG_COMP_CNT: 0
; COMPUTE_PGM_RSRC3_GFX90A:ACCUM_OFFSET: 6
; COMPUTE_PGM_RSRC3_GFX90A:TG_SPLIT: 0
	.section	.text._Z19moe_sum_kernel_vec4ILi4EEvPfPKfi,"axG",@progbits,_Z19moe_sum_kernel_vec4ILi4EEvPfPKfi,comdat
	.protected	_Z19moe_sum_kernel_vec4ILi4EEvPfPKfi ; -- Begin function _Z19moe_sum_kernel_vec4ILi4EEvPfPKfi
	.globl	_Z19moe_sum_kernel_vec4ILi4EEvPfPKfi
	.p2align	8
	.type	_Z19moe_sum_kernel_vec4ILi4EEvPfPKfi,@function
_Z19moe_sum_kernel_vec4ILi4EEvPfPKfi:   ; @_Z19moe_sum_kernel_vec4ILi4EEvPfPKfi
; %bb.0:
	s_load_dword s8, s[4:5], 0x10
	s_waitcnt lgkmcnt(0)
	s_ashr_i32 s7, s8, 2
	v_cmp_gt_i32_e32 vcc, s7, v0
	s_and_saveexec_b64 s[0:1], vcc
	s_cbranch_execz .LBB2_3
; %bb.1:
	s_ashr_i32 s0, s8, 31
	s_mul_i32 s10, s0, s6
	s_load_dwordx4 s[0:3], s[4:5], 0x0
	s_load_dword s11, s[4:5], 0x24
	s_mul_hi_u32 s9, s8, s6
	s_mul_i32 s6, s6, s8
	s_add_i32 s9, s9, s10
	v_mov_b32_e32 v1, s6
	v_alignbit_b32 v1, s9, v1, 2
	s_waitcnt lgkmcnt(0)
	s_and_b32 s8, s11, 0xffff
	s_mov_b64 s[4:5], 0
	v_mov_b32_e32 v2, s3
	v_mov_b32_e32 v3, s1
.LBB2_2:                                ; =>This Inner Loop Header: Depth=1
	v_add_u32_e32 v4, s6, v0
	v_ashrrev_i32_e32 v5, 31, v4
	v_add_u32_e32 v6, s7, v4
	v_lshlrev_b64 v[4:5], 4, v[4:5]
	v_ashrrev_i32_e32 v7, 31, v6
	v_add_co_u32_e32 v4, vcc, s2, v4
	v_add_u32_e32 v8, s7, v6
	v_addc_co_u32_e32 v5, vcc, v2, v5, vcc
	v_lshlrev_b64 v[6:7], 4, v[6:7]
	v_ashrrev_i32_e32 v9, 31, v8
	v_add_co_u32_e32 v16, vcc, s2, v6
	v_add_u32_e32 v10, s7, v8
	v_addc_co_u32_e32 v17, vcc, v2, v7, vcc
	v_lshlrev_b64 v[8:9], 4, v[8:9]
	v_ashrrev_i32_e32 v11, 31, v10
	v_add_co_u32_e32 v18, vcc, s2, v8
	global_load_dwordx4 v[4:7], v[4:5], off
	v_addc_co_u32_e32 v19, vcc, v2, v9, vcc
	v_lshlrev_b64 v[20:21], 4, v[10:11]
	global_load_dwordx4 v[8:11], v[16:17], off
	global_load_dwordx4 v[12:15], v[18:19], off
	v_add_co_u32_e32 v16, vcc, s2, v20
	v_addc_co_u32_e32 v17, vcc, v2, v21, vcc
	global_load_dwordx4 v[16:19], v[16:17], off
	v_add_u32_e32 v20, v0, v1
	v_add_u32_e32 v0, s8, v0
	v_ashrrev_i32_e32 v21, 31, v20
	v_cmp_le_i32_e32 vcc, s7, v0
	v_lshlrev_b64 v[20:21], 4, v[20:21]
	s_or_b64 s[4:5], vcc, s[4:5]
	v_add_co_u32_e32 v20, vcc, s0, v20
	v_addc_co_u32_e32 v21, vcc, v3, v21, vcc
	s_waitcnt vmcnt(3)
	v_pk_add_f32 v[6:7], v[6:7], 0 op_sel_hi:[1,0]
	v_pk_add_f32 v[4:5], v[4:5], 0 op_sel_hi:[1,0]
	s_waitcnt vmcnt(2)
	v_pk_add_f32 v[6:7], v[6:7], v[10:11]
	v_pk_add_f32 v[4:5], v[4:5], v[8:9]
	s_waitcnt vmcnt(1)
	v_pk_add_f32 v[6:7], v[6:7], v[14:15]
	v_pk_add_f32 v[4:5], v[4:5], v[12:13]
	;; [unrolled: 3-line block ×3, first 2 shown]
	global_store_dwordx4 v[20:21], v[4:7], off
	s_andn2_b64 exec, exec, s[4:5]
	s_cbranch_execnz .LBB2_2
.LBB2_3:
	s_endpgm
	.section	.rodata,"a",@progbits
	.p2align	6, 0x0
	.amdhsa_kernel _Z19moe_sum_kernel_vec4ILi4EEvPfPKfi
		.amdhsa_group_segment_fixed_size 0
		.amdhsa_private_segment_fixed_size 0
		.amdhsa_kernarg_size 280
		.amdhsa_user_sgpr_count 6
		.amdhsa_user_sgpr_private_segment_buffer 1
		.amdhsa_user_sgpr_dispatch_ptr 0
		.amdhsa_user_sgpr_queue_ptr 0
		.amdhsa_user_sgpr_kernarg_segment_ptr 1
		.amdhsa_user_sgpr_dispatch_id 0
		.amdhsa_user_sgpr_flat_scratch_init 0
		.amdhsa_user_sgpr_kernarg_preload_length 0
		.amdhsa_user_sgpr_kernarg_preload_offset 0
		.amdhsa_user_sgpr_private_segment_size 0
		.amdhsa_uses_dynamic_stack 0
		.amdhsa_system_sgpr_private_segment_wavefront_offset 0
		.amdhsa_system_sgpr_workgroup_id_x 1
		.amdhsa_system_sgpr_workgroup_id_y 0
		.amdhsa_system_sgpr_workgroup_id_z 0
		.amdhsa_system_sgpr_workgroup_info 0
		.amdhsa_system_vgpr_workitem_id 0
		.amdhsa_next_free_vgpr 22
		.amdhsa_next_free_sgpr 12
		.amdhsa_accum_offset 24
		.amdhsa_reserve_vcc 1
		.amdhsa_reserve_flat_scratch 0
		.amdhsa_float_round_mode_32 0
		.amdhsa_float_round_mode_16_64 0
		.amdhsa_float_denorm_mode_32 3
		.amdhsa_float_denorm_mode_16_64 3
		.amdhsa_dx10_clamp 1
		.amdhsa_ieee_mode 1
		.amdhsa_fp16_overflow 0
		.amdhsa_tg_split 0
		.amdhsa_exception_fp_ieee_invalid_op 0
		.amdhsa_exception_fp_denorm_src 0
		.amdhsa_exception_fp_ieee_div_zero 0
		.amdhsa_exception_fp_ieee_overflow 0
		.amdhsa_exception_fp_ieee_underflow 0
		.amdhsa_exception_fp_ieee_inexact 0
		.amdhsa_exception_int_div_zero 0
	.end_amdhsa_kernel
	.section	.text._Z19moe_sum_kernel_vec4ILi4EEvPfPKfi,"axG",@progbits,_Z19moe_sum_kernel_vec4ILi4EEvPfPKfi,comdat
.Lfunc_end2:
	.size	_Z19moe_sum_kernel_vec4ILi4EEvPfPKfi, .Lfunc_end2-_Z19moe_sum_kernel_vec4ILi4EEvPfPKfi
                                        ; -- End function
	.section	.AMDGPU.csdata,"",@progbits
; Kernel info:
; codeLenInByte = 364
; NumSgprs: 16
; NumVgprs: 22
; NumAgprs: 0
; TotalNumVgprs: 22
; ScratchSize: 0
; MemoryBound: 0
; FloatMode: 240
; IeeeMode: 1
; LDSByteSize: 0 bytes/workgroup (compile time only)
; SGPRBlocks: 1
; VGPRBlocks: 2
; NumSGPRsForWavesPerEU: 16
; NumVGPRsForWavesPerEU: 22
; AccumOffset: 24
; Occupancy: 8
; WaveLimiterHint : 0
; COMPUTE_PGM_RSRC2:SCRATCH_EN: 0
; COMPUTE_PGM_RSRC2:USER_SGPR: 6
; COMPUTE_PGM_RSRC2:TRAP_HANDLER: 0
; COMPUTE_PGM_RSRC2:TGID_X_EN: 1
; COMPUTE_PGM_RSRC2:TGID_Y_EN: 0
; COMPUTE_PGM_RSRC2:TGID_Z_EN: 0
; COMPUTE_PGM_RSRC2:TIDIG_COMP_CNT: 0
; COMPUTE_PGM_RSRC3_GFX90A:ACCUM_OFFSET: 5
; COMPUTE_PGM_RSRC3_GFX90A:TG_SPLIT: 0
	.section	.text._Z14moe_sum_kernelIfLi2EEvPT_PKS0_i,"axG",@progbits,_Z14moe_sum_kernelIfLi2EEvPT_PKS0_i,comdat
	.protected	_Z14moe_sum_kernelIfLi2EEvPT_PKS0_i ; -- Begin function _Z14moe_sum_kernelIfLi2EEvPT_PKS0_i
	.globl	_Z14moe_sum_kernelIfLi2EEvPT_PKS0_i
	.p2align	8
	.type	_Z14moe_sum_kernelIfLi2EEvPT_PKS0_i,@function
_Z14moe_sum_kernelIfLi2EEvPT_PKS0_i:    ; @_Z14moe_sum_kernelIfLi2EEvPT_PKS0_i
; %bb.0:
	s_load_dword s0, s[4:5], 0x10
	s_waitcnt lgkmcnt(0)
	v_cmp_gt_i32_e32 vcc, s0, v0
	s_and_saveexec_b64 s[2:3], vcc
	s_cbranch_execz .LBB3_3
; %bb.1:
	s_load_dwordx4 s[8:11], s[4:5], 0x0
	s_mul_hi_u32 s3, s0, s6
	s_mul_i32 s2, s0, s6
	s_load_dword s4, s[4:5], 0x24
	s_lshl_b64 s[6:7], s[2:3], 3
	s_waitcnt lgkmcnt(0)
	s_add_u32 s6, s10, s6
	s_addc_u32 s5, s11, s7
	s_lshl_b64 s[2:3], s[2:3], 2
	s_mov_b32 s1, 0
	s_add_u32 s7, s8, s2
	s_addc_u32 s9, s9, s3
	s_and_b32 s8, s4, 0xffff
	v_mov_b32_e32 v2, s5
	s_lshl_b64 s[4:5], s[0:1], 2
	s_mov_b64 s[2:3], 0
	v_mov_b32_e32 v3, s5
	v_mov_b32_e32 v4, s9
.LBB3_2:                                ; =>This Inner Loop Header: Depth=1
	v_ashrrev_i32_e32 v1, 31, v0
	v_lshlrev_b64 v[6:7], 2, v[0:1]
	v_add_co_u32_e32 v8, vcc, s6, v6
	v_addc_co_u32_e32 v9, vcc, v2, v7, vcc
	v_add_co_u32_e32 v10, vcc, s4, v8
	v_addc_co_u32_e32 v11, vcc, v9, v3, vcc
	global_load_dword v1, v[8:9], off
	global_load_dword v5, v[10:11], off
	v_add_co_u32_e32 v6, vcc, s7, v6
	v_add_u32_e32 v0, s8, v0
	v_addc_co_u32_e32 v7, vcc, v4, v7, vcc
	v_cmp_le_i32_e32 vcc, s0, v0
	s_or_b64 s[2:3], vcc, s[2:3]
	s_waitcnt vmcnt(1)
	v_add_f32_e32 v1, 0, v1
	s_waitcnt vmcnt(0)
	v_add_f32_e32 v1, v1, v5
	global_store_dword v[6:7], v1, off
	s_andn2_b64 exec, exec, s[2:3]
	s_cbranch_execnz .LBB3_2
.LBB3_3:
	s_endpgm
	.section	.rodata,"a",@progbits
	.p2align	6, 0x0
	.amdhsa_kernel _Z14moe_sum_kernelIfLi2EEvPT_PKS0_i
		.amdhsa_group_segment_fixed_size 0
		.amdhsa_private_segment_fixed_size 0
		.amdhsa_kernarg_size 280
		.amdhsa_user_sgpr_count 6
		.amdhsa_user_sgpr_private_segment_buffer 1
		.amdhsa_user_sgpr_dispatch_ptr 0
		.amdhsa_user_sgpr_queue_ptr 0
		.amdhsa_user_sgpr_kernarg_segment_ptr 1
		.amdhsa_user_sgpr_dispatch_id 0
		.amdhsa_user_sgpr_flat_scratch_init 0
		.amdhsa_user_sgpr_kernarg_preload_length 0
		.amdhsa_user_sgpr_kernarg_preload_offset 0
		.amdhsa_user_sgpr_private_segment_size 0
		.amdhsa_uses_dynamic_stack 0
		.amdhsa_system_sgpr_private_segment_wavefront_offset 0
		.amdhsa_system_sgpr_workgroup_id_x 1
		.amdhsa_system_sgpr_workgroup_id_y 0
		.amdhsa_system_sgpr_workgroup_id_z 0
		.amdhsa_system_sgpr_workgroup_info 0
		.amdhsa_system_vgpr_workitem_id 0
		.amdhsa_next_free_vgpr 12
		.amdhsa_next_free_sgpr 12
		.amdhsa_accum_offset 12
		.amdhsa_reserve_vcc 1
		.amdhsa_reserve_flat_scratch 0
		.amdhsa_float_round_mode_32 0
		.amdhsa_float_round_mode_16_64 0
		.amdhsa_float_denorm_mode_32 3
		.amdhsa_float_denorm_mode_16_64 3
		.amdhsa_dx10_clamp 1
		.amdhsa_ieee_mode 1
		.amdhsa_fp16_overflow 0
		.amdhsa_tg_split 0
		.amdhsa_exception_fp_ieee_invalid_op 0
		.amdhsa_exception_fp_denorm_src 0
		.amdhsa_exception_fp_ieee_div_zero 0
		.amdhsa_exception_fp_ieee_overflow 0
		.amdhsa_exception_fp_ieee_underflow 0
		.amdhsa_exception_fp_ieee_inexact 0
		.amdhsa_exception_int_div_zero 0
	.end_amdhsa_kernel
	.section	.text._Z14moe_sum_kernelIfLi2EEvPT_PKS0_i,"axG",@progbits,_Z14moe_sum_kernelIfLi2EEvPT_PKS0_i,comdat
.Lfunc_end3:
	.size	_Z14moe_sum_kernelIfLi2EEvPT_PKS0_i, .Lfunc_end3-_Z14moe_sum_kernelIfLi2EEvPT_PKS0_i
                                        ; -- End function
	.section	.AMDGPU.csdata,"",@progbits
; Kernel info:
; codeLenInByte = 208
; NumSgprs: 16
; NumVgprs: 12
; NumAgprs: 0
; TotalNumVgprs: 12
; ScratchSize: 0
; MemoryBound: 0
; FloatMode: 240
; IeeeMode: 1
; LDSByteSize: 0 bytes/workgroup (compile time only)
; SGPRBlocks: 1
; VGPRBlocks: 1
; NumSGPRsForWavesPerEU: 16
; NumVGPRsForWavesPerEU: 12
; AccumOffset: 12
; Occupancy: 8
; WaveLimiterHint : 0
; COMPUTE_PGM_RSRC2:SCRATCH_EN: 0
; COMPUTE_PGM_RSRC2:USER_SGPR: 6
; COMPUTE_PGM_RSRC2:TRAP_HANDLER: 0
; COMPUTE_PGM_RSRC2:TGID_X_EN: 1
; COMPUTE_PGM_RSRC2:TGID_Y_EN: 0
; COMPUTE_PGM_RSRC2:TGID_Z_EN: 0
; COMPUTE_PGM_RSRC2:TIDIG_COMP_CNT: 0
; COMPUTE_PGM_RSRC3_GFX90A:ACCUM_OFFSET: 2
; COMPUTE_PGM_RSRC3_GFX90A:TG_SPLIT: 0
	.section	.text._Z14moe_sum_kernelIfLi3EEvPT_PKS0_i,"axG",@progbits,_Z14moe_sum_kernelIfLi3EEvPT_PKS0_i,comdat
	.protected	_Z14moe_sum_kernelIfLi3EEvPT_PKS0_i ; -- Begin function _Z14moe_sum_kernelIfLi3EEvPT_PKS0_i
	.globl	_Z14moe_sum_kernelIfLi3EEvPT_PKS0_i
	.p2align	8
	.type	_Z14moe_sum_kernelIfLi3EEvPT_PKS0_i,@function
_Z14moe_sum_kernelIfLi3EEvPT_PKS0_i:    ; @_Z14moe_sum_kernelIfLi3EEvPT_PKS0_i
; %bb.0:
	s_load_dword s0, s[4:5], 0x10
	s_waitcnt lgkmcnt(0)
	v_cmp_gt_i32_e32 vcc, s0, v0
	s_and_saveexec_b64 s[2:3], vcc
	s_cbranch_execz .LBB4_3
; %bb.1:
	s_load_dwordx4 s[12:15], s[4:5], 0x0
	s_mul_hi_u32 s3, s0, s6
	s_mul_i32 s2, s0, s6
	s_mul_i32 s6, s3, 12
	s_mul_hi_u32 s7, s2, 12
	s_add_i32 s7, s7, s6
	s_mul_i32 s6, s2, 12
	s_load_dword s4, s[4:5], 0x24
	s_waitcnt lgkmcnt(0)
	s_add_u32 s8, s14, s6
	s_addc_u32 s5, s15, s7
	s_lshl_b64 s[2:3], s[2:3], 2
	s_add_u32 s9, s12, s2
	s_addc_u32 s11, s13, s3
	s_lshl_b32 s6, s0, 1
	s_mov_b32 s1, 0
	s_ashr_i32 s7, s6, 31
	s_and_b32 s10, s4, 0xffff
	v_mov_b32_e32 v2, s5
	s_lshl_b64 s[4:5], s[0:1], 2
	s_lshl_b64 s[6:7], s[6:7], 2
	s_mov_b64 s[2:3], 0
	v_mov_b32_e32 v3, s5
	v_mov_b32_e32 v4, s7
	v_mov_b32_e32 v5, s11
.LBB4_2:                                ; =>This Inner Loop Header: Depth=1
	v_ashrrev_i32_e32 v1, 31, v0
	v_lshlrev_b64 v[6:7], 2, v[0:1]
	v_add_co_u32_e32 v8, vcc, s8, v6
	v_addc_co_u32_e32 v9, vcc, v2, v7, vcc
	v_add_co_u32_e32 v10, vcc, s4, v8
	v_addc_co_u32_e32 v11, vcc, v9, v3, vcc
	;; [unrolled: 2-line block ×3, first 2 shown]
	global_load_dword v1, v[8:9], off
	global_load_dword v14, v[10:11], off
	;; [unrolled: 1-line block ×3, first 2 shown]
	v_add_co_u32_e32 v6, vcc, s9, v6
	v_add_u32_e32 v0, s10, v0
	v_addc_co_u32_e32 v7, vcc, v5, v7, vcc
	v_cmp_le_i32_e32 vcc, s0, v0
	s_or_b64 s[2:3], vcc, s[2:3]
	s_waitcnt vmcnt(2)
	v_add_f32_e32 v1, 0, v1
	s_waitcnt vmcnt(1)
	v_add_f32_e32 v1, v1, v14
	;; [unrolled: 2-line block ×3, first 2 shown]
	global_store_dword v[6:7], v1, off
	s_andn2_b64 exec, exec, s[2:3]
	s_cbranch_execnz .LBB4_2
.LBB4_3:
	s_endpgm
	.section	.rodata,"a",@progbits
	.p2align	6, 0x0
	.amdhsa_kernel _Z14moe_sum_kernelIfLi3EEvPT_PKS0_i
		.amdhsa_group_segment_fixed_size 0
		.amdhsa_private_segment_fixed_size 0
		.amdhsa_kernarg_size 280
		.amdhsa_user_sgpr_count 6
		.amdhsa_user_sgpr_private_segment_buffer 1
		.amdhsa_user_sgpr_dispatch_ptr 0
		.amdhsa_user_sgpr_queue_ptr 0
		.amdhsa_user_sgpr_kernarg_segment_ptr 1
		.amdhsa_user_sgpr_dispatch_id 0
		.amdhsa_user_sgpr_flat_scratch_init 0
		.amdhsa_user_sgpr_kernarg_preload_length 0
		.amdhsa_user_sgpr_kernarg_preload_offset 0
		.amdhsa_user_sgpr_private_segment_size 0
		.amdhsa_uses_dynamic_stack 0
		.amdhsa_system_sgpr_private_segment_wavefront_offset 0
		.amdhsa_system_sgpr_workgroup_id_x 1
		.amdhsa_system_sgpr_workgroup_id_y 0
		.amdhsa_system_sgpr_workgroup_id_z 0
		.amdhsa_system_sgpr_workgroup_info 0
		.amdhsa_system_vgpr_workitem_id 0
		.amdhsa_next_free_vgpr 16
		.amdhsa_next_free_sgpr 16
		.amdhsa_accum_offset 16
		.amdhsa_reserve_vcc 1
		.amdhsa_reserve_flat_scratch 0
		.amdhsa_float_round_mode_32 0
		.amdhsa_float_round_mode_16_64 0
		.amdhsa_float_denorm_mode_32 3
		.amdhsa_float_denorm_mode_16_64 3
		.amdhsa_dx10_clamp 1
		.amdhsa_ieee_mode 1
		.amdhsa_fp16_overflow 0
		.amdhsa_tg_split 0
		.amdhsa_exception_fp_ieee_invalid_op 0
		.amdhsa_exception_fp_denorm_src 0
		.amdhsa_exception_fp_ieee_div_zero 0
		.amdhsa_exception_fp_ieee_overflow 0
		.amdhsa_exception_fp_ieee_underflow 0
		.amdhsa_exception_fp_ieee_inexact 0
		.amdhsa_exception_int_div_zero 0
	.end_amdhsa_kernel
	.section	.text._Z14moe_sum_kernelIfLi3EEvPT_PKS0_i,"axG",@progbits,_Z14moe_sum_kernelIfLi3EEvPT_PKS0_i,comdat
.Lfunc_end4:
	.size	_Z14moe_sum_kernelIfLi3EEvPT_PKS0_i, .Lfunc_end4-_Z14moe_sum_kernelIfLi3EEvPT_PKS0_i
                                        ; -- End function
	.section	.AMDGPU.csdata,"",@progbits
; Kernel info:
; codeLenInByte = 260
; NumSgprs: 20
; NumVgprs: 16
; NumAgprs: 0
; TotalNumVgprs: 16
; ScratchSize: 0
; MemoryBound: 0
; FloatMode: 240
; IeeeMode: 1
; LDSByteSize: 0 bytes/workgroup (compile time only)
; SGPRBlocks: 2
; VGPRBlocks: 1
; NumSGPRsForWavesPerEU: 20
; NumVGPRsForWavesPerEU: 16
; AccumOffset: 16
; Occupancy: 8
; WaveLimiterHint : 0
; COMPUTE_PGM_RSRC2:SCRATCH_EN: 0
; COMPUTE_PGM_RSRC2:USER_SGPR: 6
; COMPUTE_PGM_RSRC2:TRAP_HANDLER: 0
; COMPUTE_PGM_RSRC2:TGID_X_EN: 1
; COMPUTE_PGM_RSRC2:TGID_Y_EN: 0
; COMPUTE_PGM_RSRC2:TGID_Z_EN: 0
; COMPUTE_PGM_RSRC2:TIDIG_COMP_CNT: 0
; COMPUTE_PGM_RSRC3_GFX90A:ACCUM_OFFSET: 3
; COMPUTE_PGM_RSRC3_GFX90A:TG_SPLIT: 0
	.section	.text._Z14moe_sum_kernelIfLi4EEvPT_PKS0_i,"axG",@progbits,_Z14moe_sum_kernelIfLi4EEvPT_PKS0_i,comdat
	.protected	_Z14moe_sum_kernelIfLi4EEvPT_PKS0_i ; -- Begin function _Z14moe_sum_kernelIfLi4EEvPT_PKS0_i
	.globl	_Z14moe_sum_kernelIfLi4EEvPT_PKS0_i
	.p2align	8
	.type	_Z14moe_sum_kernelIfLi4EEvPT_PKS0_i,@function
_Z14moe_sum_kernelIfLi4EEvPT_PKS0_i:    ; @_Z14moe_sum_kernelIfLi4EEvPT_PKS0_i
; %bb.0:
	s_load_dword s0, s[4:5], 0x10
	s_waitcnt lgkmcnt(0)
	v_cmp_gt_i32_e32 vcc, s0, v0
	s_and_saveexec_b64 s[2:3], vcc
	s_cbranch_execz .LBB5_3
; %bb.1:
	s_load_dwordx4 s[8:11], s[4:5], 0x0
	s_mul_hi_u32 s3, s0, s6
	s_mul_i32 s2, s0, s6
	s_lshl_b64 s[6:7], s[2:3], 4
	s_load_dword s4, s[4:5], 0x24
	s_waitcnt lgkmcnt(0)
	s_add_u32 s10, s10, s6
	s_addc_u32 s6, s11, s7
	s_lshl_b64 s[2:3], s[2:3], 2
	s_add_u32 s11, s8, s2
	s_addc_u32 s13, s9, s3
	s_lshl_b32 s8, s0, 1
	s_mov_b32 s1, 0
	s_ashr_i32 s9, s8, 31
	s_ashr_i32 s3, s0, 31
	s_mov_b32 s2, s0
	s_lshl_b64 s[2:3], s[2:3], 2
	v_mov_b32_e32 v2, s6
	s_lshl_b64 s[6:7], s[0:1], 2
	s_lshl_b64 s[8:9], s[8:9], 2
	s_and_b32 s12, s4, 0xffff
	s_mov_b64 s[4:5], 0
	v_mov_b32_e32 v3, s7
	v_mov_b32_e32 v4, s9
	;; [unrolled: 1-line block ×4, first 2 shown]
.LBB5_2:                                ; =>This Inner Loop Header: Depth=1
	v_ashrrev_i32_e32 v1, 31, v0
	v_lshlrev_b64 v[8:9], 2, v[0:1]
	v_add_co_u32_e32 v10, vcc, s10, v8
	v_addc_co_u32_e32 v11, vcc, v2, v9, vcc
	v_add_co_u32_e32 v12, vcc, s6, v10
	v_addc_co_u32_e32 v13, vcc, v11, v3, vcc
	;; [unrolled: 2-line block ×4, first 2 shown]
	global_load_dword v1, v[10:11], off
	global_load_dword v7, v[12:13], off
	;; [unrolled: 1-line block ×4, first 2 shown]
	v_add_co_u32_e32 v8, vcc, s11, v8
	v_add_u32_e32 v0, s12, v0
	v_addc_co_u32_e32 v9, vcc, v6, v9, vcc
	v_cmp_le_i32_e32 vcc, s0, v0
	s_or_b64 s[4:5], vcc, s[4:5]
	s_waitcnt vmcnt(3)
	v_add_f32_e32 v1, 0, v1
	s_waitcnt vmcnt(2)
	v_add_f32_e32 v1, v1, v7
	;; [unrolled: 2-line block ×4, first 2 shown]
	global_store_dword v[8:9], v1, off
	s_andn2_b64 exec, exec, s[4:5]
	s_cbranch_execnz .LBB5_2
.LBB5_3:
	s_endpgm
	.section	.rodata,"a",@progbits
	.p2align	6, 0x0
	.amdhsa_kernel _Z14moe_sum_kernelIfLi4EEvPT_PKS0_i
		.amdhsa_group_segment_fixed_size 0
		.amdhsa_private_segment_fixed_size 0
		.amdhsa_kernarg_size 280
		.amdhsa_user_sgpr_count 6
		.amdhsa_user_sgpr_private_segment_buffer 1
		.amdhsa_user_sgpr_dispatch_ptr 0
		.amdhsa_user_sgpr_queue_ptr 0
		.amdhsa_user_sgpr_kernarg_segment_ptr 1
		.amdhsa_user_sgpr_dispatch_id 0
		.amdhsa_user_sgpr_flat_scratch_init 0
		.amdhsa_user_sgpr_kernarg_preload_length 0
		.amdhsa_user_sgpr_kernarg_preload_offset 0
		.amdhsa_user_sgpr_private_segment_size 0
		.amdhsa_uses_dynamic_stack 0
		.amdhsa_system_sgpr_private_segment_wavefront_offset 0
		.amdhsa_system_sgpr_workgroup_id_x 1
		.amdhsa_system_sgpr_workgroup_id_y 0
		.amdhsa_system_sgpr_workgroup_id_z 0
		.amdhsa_system_sgpr_workgroup_info 0
		.amdhsa_system_vgpr_workitem_id 0
		.amdhsa_next_free_vgpr 20
		.amdhsa_next_free_sgpr 14
		.amdhsa_accum_offset 20
		.amdhsa_reserve_vcc 1
		.amdhsa_reserve_flat_scratch 0
		.amdhsa_float_round_mode_32 0
		.amdhsa_float_round_mode_16_64 0
		.amdhsa_float_denorm_mode_32 3
		.amdhsa_float_denorm_mode_16_64 3
		.amdhsa_dx10_clamp 1
		.amdhsa_ieee_mode 1
		.amdhsa_fp16_overflow 0
		.amdhsa_tg_split 0
		.amdhsa_exception_fp_ieee_invalid_op 0
		.amdhsa_exception_fp_denorm_src 0
		.amdhsa_exception_fp_ieee_div_zero 0
		.amdhsa_exception_fp_ieee_overflow 0
		.amdhsa_exception_fp_ieee_underflow 0
		.amdhsa_exception_fp_ieee_inexact 0
		.amdhsa_exception_int_div_zero 0
	.end_amdhsa_kernel
	.section	.text._Z14moe_sum_kernelIfLi4EEvPT_PKS0_i,"axG",@progbits,_Z14moe_sum_kernelIfLi4EEvPT_PKS0_i,comdat
.Lfunc_end5:
	.size	_Z14moe_sum_kernelIfLi4EEvPT_PKS0_i, .Lfunc_end5-_Z14moe_sum_kernelIfLi4EEvPT_PKS0_i
                                        ; -- End function
	.section	.AMDGPU.csdata,"",@progbits
; Kernel info:
; codeLenInByte = 288
; NumSgprs: 18
; NumVgprs: 20
; NumAgprs: 0
; TotalNumVgprs: 20
; ScratchSize: 0
; MemoryBound: 0
; FloatMode: 240
; IeeeMode: 1
; LDSByteSize: 0 bytes/workgroup (compile time only)
; SGPRBlocks: 2
; VGPRBlocks: 2
; NumSGPRsForWavesPerEU: 18
; NumVGPRsForWavesPerEU: 20
; AccumOffset: 20
; Occupancy: 8
; WaveLimiterHint : 0
; COMPUTE_PGM_RSRC2:SCRATCH_EN: 0
; COMPUTE_PGM_RSRC2:USER_SGPR: 6
; COMPUTE_PGM_RSRC2:TRAP_HANDLER: 0
; COMPUTE_PGM_RSRC2:TGID_X_EN: 1
; COMPUTE_PGM_RSRC2:TGID_Y_EN: 0
; COMPUTE_PGM_RSRC2:TGID_Z_EN: 0
; COMPUTE_PGM_RSRC2:TIDIG_COMP_CNT: 0
; COMPUTE_PGM_RSRC3_GFX90A:ACCUM_OFFSET: 4
; COMPUTE_PGM_RSRC3_GFX90A:TG_SPLIT: 0
	.text
	.p2alignl 6, 3212836864
	.fill 256, 4, 3212836864
	.type	__hip_cuid_f943f348ba04b51,@object ; @__hip_cuid_f943f348ba04b51
	.section	.bss,"aw",@nobits
	.globl	__hip_cuid_f943f348ba04b51
__hip_cuid_f943f348ba04b51:
	.byte	0                               ; 0x0
	.size	__hip_cuid_f943f348ba04b51, 1

	.ident	"AMD clang version 19.0.0git (https://github.com/RadeonOpenCompute/llvm-project roc-6.4.0 25133 c7fe45cf4b819c5991fe208aaa96edf142730f1d)"
	.section	".note.GNU-stack","",@progbits
	.addrsig
	.addrsig_sym __hip_cuid_f943f348ba04b51
	.amdgpu_metadata
---
amdhsa.kernels:
  - .agpr_count:     0
    .args:
      - .actual_access:  write_only
        .address_space:  global
        .offset:         0
        .size:           8
        .value_kind:     global_buffer
      - .actual_access:  read_only
        .address_space:  global
        .offset:         8
        .size:           8
        .value_kind:     global_buffer
      - .offset:         16
        .size:           4
        .value_kind:     by_value
      - .offset:         24
        .size:           4
        .value_kind:     hidden_block_count_x
      - .offset:         28
        .size:           4
        .value_kind:     hidden_block_count_y
      - .offset:         32
        .size:           4
        .value_kind:     hidden_block_count_z
      - .offset:         36
        .size:           2
        .value_kind:     hidden_group_size_x
      - .offset:         38
        .size:           2
        .value_kind:     hidden_group_size_y
      - .offset:         40
        .size:           2
        .value_kind:     hidden_group_size_z
      - .offset:         42
        .size:           2
        .value_kind:     hidden_remainder_x
      - .offset:         44
        .size:           2
        .value_kind:     hidden_remainder_y
      - .offset:         46
        .size:           2
        .value_kind:     hidden_remainder_z
      - .offset:         64
        .size:           8
        .value_kind:     hidden_global_offset_x
      - .offset:         72
        .size:           8
        .value_kind:     hidden_global_offset_y
      - .offset:         80
        .size:           8
        .value_kind:     hidden_global_offset_z
      - .offset:         88
        .size:           2
        .value_kind:     hidden_grid_dims
    .group_segment_fixed_size: 0
    .kernarg_segment_align: 8
    .kernarg_segment_size: 280
    .language:       OpenCL C
    .language_version:
      - 2
      - 0
    .max_flat_workgroup_size: 1024
    .name:           _Z19moe_sum_kernel_vec4ILi2EEvPfPKfi
    .private_segment_fixed_size: 0
    .sgpr_count:     15
    .sgpr_spill_count: 0
    .symbol:         _Z19moe_sum_kernel_vec4ILi2EEvPfPKfi.kd
    .uniform_work_group_size: 1
    .uses_dynamic_stack: false
    .vgpr_count:     20
    .vgpr_spill_count: 0
    .wavefront_size: 64
  - .agpr_count:     0
    .args:
      - .actual_access:  write_only
        .address_space:  global
        .offset:         0
        .size:           8
        .value_kind:     global_buffer
      - .actual_access:  read_only
        .address_space:  global
        .offset:         8
        .size:           8
        .value_kind:     global_buffer
      - .offset:         16
        .size:           4
        .value_kind:     by_value
      - .offset:         24
        .size:           4
        .value_kind:     hidden_block_count_x
      - .offset:         28
        .size:           4
        .value_kind:     hidden_block_count_y
      - .offset:         32
        .size:           4
        .value_kind:     hidden_block_count_z
      - .offset:         36
        .size:           2
        .value_kind:     hidden_group_size_x
      - .offset:         38
        .size:           2
        .value_kind:     hidden_group_size_y
      - .offset:         40
        .size:           2
        .value_kind:     hidden_group_size_z
      - .offset:         42
        .size:           2
        .value_kind:     hidden_remainder_x
      - .offset:         44
        .size:           2
        .value_kind:     hidden_remainder_y
      - .offset:         46
        .size:           2
        .value_kind:     hidden_remainder_z
      - .offset:         64
        .size:           8
        .value_kind:     hidden_global_offset_x
      - .offset:         72
        .size:           8
        .value_kind:     hidden_global_offset_y
      - .offset:         80
        .size:           8
        .value_kind:     hidden_global_offset_z
      - .offset:         88
        .size:           2
        .value_kind:     hidden_grid_dims
    .group_segment_fixed_size: 0
    .kernarg_segment_align: 8
    .kernarg_segment_size: 280
    .language:       OpenCL C
    .language_version:
      - 2
      - 0
    .max_flat_workgroup_size: 1024
    .name:           _Z19moe_sum_kernel_vec4ILi3EEvPfPKfi
    .private_segment_fixed_size: 0
    .sgpr_count:     15
    .sgpr_spill_count: 0
    .symbol:         _Z19moe_sum_kernel_vec4ILi3EEvPfPKfi.kd
    .uniform_work_group_size: 1
    .uses_dynamic_stack: false
    .vgpr_count:     26
    .vgpr_spill_count: 0
    .wavefront_size: 64
  - .agpr_count:     0
    .args:
      - .actual_access:  write_only
        .address_space:  global
        .offset:         0
        .size:           8
        .value_kind:     global_buffer
      - .actual_access:  read_only
        .address_space:  global
        .offset:         8
        .size:           8
        .value_kind:     global_buffer
      - .offset:         16
        .size:           4
        .value_kind:     by_value
      - .offset:         24
        .size:           4
        .value_kind:     hidden_block_count_x
      - .offset:         28
        .size:           4
        .value_kind:     hidden_block_count_y
      - .offset:         32
        .size:           4
        .value_kind:     hidden_block_count_z
      - .offset:         36
        .size:           2
        .value_kind:     hidden_group_size_x
      - .offset:         38
        .size:           2
        .value_kind:     hidden_group_size_y
      - .offset:         40
        .size:           2
        .value_kind:     hidden_group_size_z
      - .offset:         42
        .size:           2
        .value_kind:     hidden_remainder_x
      - .offset:         44
        .size:           2
        .value_kind:     hidden_remainder_y
      - .offset:         46
        .size:           2
        .value_kind:     hidden_remainder_z
      - .offset:         64
        .size:           8
        .value_kind:     hidden_global_offset_x
      - .offset:         72
        .size:           8
        .value_kind:     hidden_global_offset_y
      - .offset:         80
        .size:           8
        .value_kind:     hidden_global_offset_z
      - .offset:         88
        .size:           2
        .value_kind:     hidden_grid_dims
    .group_segment_fixed_size: 0
    .kernarg_segment_align: 8
    .kernarg_segment_size: 280
    .language:       OpenCL C
    .language_version:
      - 2
      - 0
    .max_flat_workgroup_size: 1024
    .name:           _Z19moe_sum_kernel_vec4ILi4EEvPfPKfi
    .private_segment_fixed_size: 0
    .sgpr_count:     16
    .sgpr_spill_count: 0
    .symbol:         _Z19moe_sum_kernel_vec4ILi4EEvPfPKfi.kd
    .uniform_work_group_size: 1
    .uses_dynamic_stack: false
    .vgpr_count:     22
    .vgpr_spill_count: 0
    .wavefront_size: 64
  - .agpr_count:     0
    .args:
      - .actual_access:  write_only
        .address_space:  global
        .offset:         0
        .size:           8
        .value_kind:     global_buffer
      - .actual_access:  read_only
        .address_space:  global
        .offset:         8
        .size:           8
        .value_kind:     global_buffer
      - .offset:         16
        .size:           4
        .value_kind:     by_value
      - .offset:         24
        .size:           4
        .value_kind:     hidden_block_count_x
      - .offset:         28
        .size:           4
        .value_kind:     hidden_block_count_y
      - .offset:         32
        .size:           4
        .value_kind:     hidden_block_count_z
      - .offset:         36
        .size:           2
        .value_kind:     hidden_group_size_x
      - .offset:         38
        .size:           2
        .value_kind:     hidden_group_size_y
      - .offset:         40
        .size:           2
        .value_kind:     hidden_group_size_z
      - .offset:         42
        .size:           2
        .value_kind:     hidden_remainder_x
      - .offset:         44
        .size:           2
        .value_kind:     hidden_remainder_y
      - .offset:         46
        .size:           2
        .value_kind:     hidden_remainder_z
      - .offset:         64
        .size:           8
        .value_kind:     hidden_global_offset_x
      - .offset:         72
        .size:           8
        .value_kind:     hidden_global_offset_y
      - .offset:         80
        .size:           8
        .value_kind:     hidden_global_offset_z
      - .offset:         88
        .size:           2
        .value_kind:     hidden_grid_dims
    .group_segment_fixed_size: 0
    .kernarg_segment_align: 8
    .kernarg_segment_size: 280
    .language:       OpenCL C
    .language_version:
      - 2
      - 0
    .max_flat_workgroup_size: 1024
    .name:           _Z14moe_sum_kernelIfLi2EEvPT_PKS0_i
    .private_segment_fixed_size: 0
    .sgpr_count:     16
    .sgpr_spill_count: 0
    .symbol:         _Z14moe_sum_kernelIfLi2EEvPT_PKS0_i.kd
    .uniform_work_group_size: 1
    .uses_dynamic_stack: false
    .vgpr_count:     12
    .vgpr_spill_count: 0
    .wavefront_size: 64
  - .agpr_count:     0
    .args:
      - .actual_access:  write_only
        .address_space:  global
        .offset:         0
        .size:           8
        .value_kind:     global_buffer
      - .actual_access:  read_only
        .address_space:  global
        .offset:         8
        .size:           8
        .value_kind:     global_buffer
      - .offset:         16
        .size:           4
        .value_kind:     by_value
      - .offset:         24
        .size:           4
        .value_kind:     hidden_block_count_x
      - .offset:         28
        .size:           4
        .value_kind:     hidden_block_count_y
      - .offset:         32
        .size:           4
        .value_kind:     hidden_block_count_z
      - .offset:         36
        .size:           2
        .value_kind:     hidden_group_size_x
      - .offset:         38
        .size:           2
        .value_kind:     hidden_group_size_y
      - .offset:         40
        .size:           2
        .value_kind:     hidden_group_size_z
      - .offset:         42
        .size:           2
        .value_kind:     hidden_remainder_x
      - .offset:         44
        .size:           2
        .value_kind:     hidden_remainder_y
      - .offset:         46
        .size:           2
        .value_kind:     hidden_remainder_z
      - .offset:         64
        .size:           8
        .value_kind:     hidden_global_offset_x
      - .offset:         72
        .size:           8
        .value_kind:     hidden_global_offset_y
      - .offset:         80
        .size:           8
        .value_kind:     hidden_global_offset_z
      - .offset:         88
        .size:           2
        .value_kind:     hidden_grid_dims
    .group_segment_fixed_size: 0
    .kernarg_segment_align: 8
    .kernarg_segment_size: 280
    .language:       OpenCL C
    .language_version:
      - 2
      - 0
    .max_flat_workgroup_size: 1024
    .name:           _Z14moe_sum_kernelIfLi3EEvPT_PKS0_i
    .private_segment_fixed_size: 0
    .sgpr_count:     20
    .sgpr_spill_count: 0
    .symbol:         _Z14moe_sum_kernelIfLi3EEvPT_PKS0_i.kd
    .uniform_work_group_size: 1
    .uses_dynamic_stack: false
    .vgpr_count:     16
    .vgpr_spill_count: 0
    .wavefront_size: 64
  - .agpr_count:     0
    .args:
      - .actual_access:  write_only
        .address_space:  global
        .offset:         0
        .size:           8
        .value_kind:     global_buffer
      - .actual_access:  read_only
        .address_space:  global
        .offset:         8
        .size:           8
        .value_kind:     global_buffer
      - .offset:         16
        .size:           4
        .value_kind:     by_value
      - .offset:         24
        .size:           4
        .value_kind:     hidden_block_count_x
      - .offset:         28
        .size:           4
        .value_kind:     hidden_block_count_y
      - .offset:         32
        .size:           4
        .value_kind:     hidden_block_count_z
      - .offset:         36
        .size:           2
        .value_kind:     hidden_group_size_x
      - .offset:         38
        .size:           2
        .value_kind:     hidden_group_size_y
      - .offset:         40
        .size:           2
        .value_kind:     hidden_group_size_z
      - .offset:         42
        .size:           2
        .value_kind:     hidden_remainder_x
      - .offset:         44
        .size:           2
        .value_kind:     hidden_remainder_y
      - .offset:         46
        .size:           2
        .value_kind:     hidden_remainder_z
      - .offset:         64
        .size:           8
        .value_kind:     hidden_global_offset_x
      - .offset:         72
        .size:           8
        .value_kind:     hidden_global_offset_y
      - .offset:         80
        .size:           8
        .value_kind:     hidden_global_offset_z
      - .offset:         88
        .size:           2
        .value_kind:     hidden_grid_dims
    .group_segment_fixed_size: 0
    .kernarg_segment_align: 8
    .kernarg_segment_size: 280
    .language:       OpenCL C
    .language_version:
      - 2
      - 0
    .max_flat_workgroup_size: 1024
    .name:           _Z14moe_sum_kernelIfLi4EEvPT_PKS0_i
    .private_segment_fixed_size: 0
    .sgpr_count:     18
    .sgpr_spill_count: 0
    .symbol:         _Z14moe_sum_kernelIfLi4EEvPT_PKS0_i.kd
    .uniform_work_group_size: 1
    .uses_dynamic_stack: false
    .vgpr_count:     20
    .vgpr_spill_count: 0
    .wavefront_size: 64
amdhsa.target:   amdgcn-amd-amdhsa--gfx90a
amdhsa.version:
  - 1
  - 2
...

	.end_amdgpu_metadata
